;; amdgpu-corpus repo=ROCm/rocFFT kind=compiled arch=gfx1030 opt=O3
	.text
	.amdgcn_target "amdgcn-amd-amdhsa--gfx1030"
	.amdhsa_code_object_version 6
	.protected	fft_rtc_back_len1936_factors_2_2_4_11_11_wgs_176_tpt_176_dp_ip_CI_sbrr_dirReg ; -- Begin function fft_rtc_back_len1936_factors_2_2_4_11_11_wgs_176_tpt_176_dp_ip_CI_sbrr_dirReg
	.globl	fft_rtc_back_len1936_factors_2_2_4_11_11_wgs_176_tpt_176_dp_ip_CI_sbrr_dirReg
	.p2align	8
	.type	fft_rtc_back_len1936_factors_2_2_4_11_11_wgs_176_tpt_176_dp_ip_CI_sbrr_dirReg,@function
fft_rtc_back_len1936_factors_2_2_4_11_11_wgs_176_tpt_176_dp_ip_CI_sbrr_dirReg: ; @fft_rtc_back_len1936_factors_2_2_4_11_11_wgs_176_tpt_176_dp_ip_CI_sbrr_dirReg
; %bb.0:
	s_clause 0x2
	s_load_dwordx2 s[14:15], s[4:5], 0x18
	s_load_dwordx4 s[8:11], s[4:5], 0x0
	s_load_dwordx2 s[12:13], s[4:5], 0x50
	v_mul_u32_u24_e32 v1, 0x175, v0
	v_mov_b32_e32 v3, 0
	v_add_nc_u32_sdwa v5, s6, v1 dst_sel:DWORD dst_unused:UNUSED_PAD src0_sel:DWORD src1_sel:WORD_1
	v_mov_b32_e32 v1, 0
	v_mov_b32_e32 v6, v3
	v_mov_b32_e32 v2, 0
	s_waitcnt lgkmcnt(0)
	s_load_dwordx2 s[2:3], s[14:15], 0x0
	v_cmp_lt_u64_e64 s0, s[10:11], 2
	s_and_b32 vcc_lo, exec_lo, s0
	s_cbranch_vccnz .LBB0_8
; %bb.1:
	s_load_dwordx2 s[0:1], s[4:5], 0x10
	v_mov_b32_e32 v1, 0
	s_add_u32 s6, s14, 8
	v_mov_b32_e32 v2, 0
	s_addc_u32 s7, s15, 0
	s_mov_b64 s[18:19], 1
	s_waitcnt lgkmcnt(0)
	s_add_u32 s16, s0, 8
	s_addc_u32 s17, s1, 0
.LBB0_2:                                ; =>This Inner Loop Header: Depth=1
	s_load_dwordx2 s[20:21], s[16:17], 0x0
                                        ; implicit-def: $vgpr7_vgpr8
	s_mov_b32 s0, exec_lo
	s_waitcnt lgkmcnt(0)
	v_or_b32_e32 v4, s21, v6
	v_cmpx_ne_u64_e32 0, v[3:4]
	s_xor_b32 s1, exec_lo, s0
	s_cbranch_execz .LBB0_4
; %bb.3:                                ;   in Loop: Header=BB0_2 Depth=1
	v_cvt_f32_u32_e32 v4, s20
	v_cvt_f32_u32_e32 v7, s21
	s_sub_u32 s0, 0, s20
	s_subb_u32 s22, 0, s21
	v_fmac_f32_e32 v4, 0x4f800000, v7
	v_rcp_f32_e32 v4, v4
	v_mul_f32_e32 v4, 0x5f7ffffc, v4
	v_mul_f32_e32 v7, 0x2f800000, v4
	v_trunc_f32_e32 v7, v7
	v_fmac_f32_e32 v4, 0xcf800000, v7
	v_cvt_u32_f32_e32 v7, v7
	v_cvt_u32_f32_e32 v4, v4
	v_mul_lo_u32 v8, s0, v7
	v_mul_hi_u32 v9, s0, v4
	v_mul_lo_u32 v10, s22, v4
	v_add_nc_u32_e32 v8, v9, v8
	v_mul_lo_u32 v9, s0, v4
	v_add_nc_u32_e32 v8, v8, v10
	v_mul_hi_u32 v10, v4, v9
	v_mul_lo_u32 v11, v4, v8
	v_mul_hi_u32 v12, v4, v8
	v_mul_hi_u32 v13, v7, v9
	v_mul_lo_u32 v9, v7, v9
	v_mul_hi_u32 v14, v7, v8
	v_mul_lo_u32 v8, v7, v8
	v_add_co_u32 v10, vcc_lo, v10, v11
	v_add_co_ci_u32_e32 v11, vcc_lo, 0, v12, vcc_lo
	v_add_co_u32 v9, vcc_lo, v10, v9
	v_add_co_ci_u32_e32 v9, vcc_lo, v11, v13, vcc_lo
	v_add_co_ci_u32_e32 v10, vcc_lo, 0, v14, vcc_lo
	v_add_co_u32 v8, vcc_lo, v9, v8
	v_add_co_ci_u32_e32 v9, vcc_lo, 0, v10, vcc_lo
	v_add_co_u32 v4, vcc_lo, v4, v8
	v_add_co_ci_u32_e32 v7, vcc_lo, v7, v9, vcc_lo
	v_mul_hi_u32 v8, s0, v4
	v_mul_lo_u32 v10, s22, v4
	v_mul_lo_u32 v9, s0, v7
	v_add_nc_u32_e32 v8, v8, v9
	v_mul_lo_u32 v9, s0, v4
	v_add_nc_u32_e32 v8, v8, v10
	v_mul_hi_u32 v10, v4, v9
	v_mul_lo_u32 v11, v4, v8
	v_mul_hi_u32 v12, v4, v8
	v_mul_hi_u32 v13, v7, v9
	v_mul_lo_u32 v9, v7, v9
	v_mul_hi_u32 v14, v7, v8
	v_mul_lo_u32 v8, v7, v8
	v_add_co_u32 v10, vcc_lo, v10, v11
	v_add_co_ci_u32_e32 v11, vcc_lo, 0, v12, vcc_lo
	v_add_co_u32 v9, vcc_lo, v10, v9
	v_add_co_ci_u32_e32 v9, vcc_lo, v11, v13, vcc_lo
	v_add_co_ci_u32_e32 v10, vcc_lo, 0, v14, vcc_lo
	v_add_co_u32 v8, vcc_lo, v9, v8
	v_add_co_ci_u32_e32 v9, vcc_lo, 0, v10, vcc_lo
	v_add_co_u32 v4, vcc_lo, v4, v8
	v_add_co_ci_u32_e32 v11, vcc_lo, v7, v9, vcc_lo
	v_mul_hi_u32 v13, v5, v4
	v_mad_u64_u32 v[9:10], null, v6, v4, 0
	v_mad_u64_u32 v[7:8], null, v5, v11, 0
	;; [unrolled: 1-line block ×3, first 2 shown]
	v_add_co_u32 v4, vcc_lo, v13, v7
	v_add_co_ci_u32_e32 v7, vcc_lo, 0, v8, vcc_lo
	v_add_co_u32 v4, vcc_lo, v4, v9
	v_add_co_ci_u32_e32 v4, vcc_lo, v7, v10, vcc_lo
	v_add_co_ci_u32_e32 v7, vcc_lo, 0, v12, vcc_lo
	v_add_co_u32 v4, vcc_lo, v4, v11
	v_add_co_ci_u32_e32 v9, vcc_lo, 0, v7, vcc_lo
	v_mul_lo_u32 v10, s21, v4
	v_mad_u64_u32 v[7:8], null, s20, v4, 0
	v_mul_lo_u32 v11, s20, v9
	v_sub_co_u32 v7, vcc_lo, v5, v7
	v_add3_u32 v8, v8, v11, v10
	v_sub_nc_u32_e32 v10, v6, v8
	v_subrev_co_ci_u32_e64 v10, s0, s21, v10, vcc_lo
	v_add_co_u32 v11, s0, v4, 2
	v_add_co_ci_u32_e64 v12, s0, 0, v9, s0
	v_sub_co_u32 v13, s0, v7, s20
	v_sub_co_ci_u32_e32 v8, vcc_lo, v6, v8, vcc_lo
	v_subrev_co_ci_u32_e64 v10, s0, 0, v10, s0
	v_cmp_le_u32_e32 vcc_lo, s20, v13
	v_cmp_eq_u32_e64 s0, s21, v8
	v_cndmask_b32_e64 v13, 0, -1, vcc_lo
	v_cmp_le_u32_e32 vcc_lo, s21, v10
	v_cndmask_b32_e64 v14, 0, -1, vcc_lo
	v_cmp_le_u32_e32 vcc_lo, s20, v7
	;; [unrolled: 2-line block ×3, first 2 shown]
	v_cndmask_b32_e64 v15, 0, -1, vcc_lo
	v_cmp_eq_u32_e32 vcc_lo, s21, v10
	v_cndmask_b32_e64 v7, v15, v7, s0
	v_cndmask_b32_e32 v10, v14, v13, vcc_lo
	v_add_co_u32 v13, vcc_lo, v4, 1
	v_add_co_ci_u32_e32 v14, vcc_lo, 0, v9, vcc_lo
	v_cmp_ne_u32_e32 vcc_lo, 0, v10
	v_cndmask_b32_e32 v8, v14, v12, vcc_lo
	v_cndmask_b32_e32 v10, v13, v11, vcc_lo
	v_cmp_ne_u32_e32 vcc_lo, 0, v7
	v_cndmask_b32_e32 v8, v9, v8, vcc_lo
	v_cndmask_b32_e32 v7, v4, v10, vcc_lo
.LBB0_4:                                ;   in Loop: Header=BB0_2 Depth=1
	s_andn2_saveexec_b32 s0, s1
	s_cbranch_execz .LBB0_6
; %bb.5:                                ;   in Loop: Header=BB0_2 Depth=1
	v_cvt_f32_u32_e32 v4, s20
	s_sub_i32 s1, 0, s20
	v_rcp_iflag_f32_e32 v4, v4
	v_mul_f32_e32 v4, 0x4f7ffffe, v4
	v_cvt_u32_f32_e32 v4, v4
	v_mul_lo_u32 v7, s1, v4
	v_mul_hi_u32 v7, v4, v7
	v_add_nc_u32_e32 v4, v4, v7
	v_mul_hi_u32 v4, v5, v4
	v_mul_lo_u32 v7, v4, s20
	v_add_nc_u32_e32 v8, 1, v4
	v_sub_nc_u32_e32 v7, v5, v7
	v_subrev_nc_u32_e32 v9, s20, v7
	v_cmp_le_u32_e32 vcc_lo, s20, v7
	v_cndmask_b32_e32 v7, v7, v9, vcc_lo
	v_cndmask_b32_e32 v4, v4, v8, vcc_lo
	v_cmp_le_u32_e32 vcc_lo, s20, v7
	v_add_nc_u32_e32 v8, 1, v4
	v_cndmask_b32_e32 v7, v4, v8, vcc_lo
	v_mov_b32_e32 v8, v3
.LBB0_6:                                ;   in Loop: Header=BB0_2 Depth=1
	s_or_b32 exec_lo, exec_lo, s0
	s_load_dwordx2 s[0:1], s[6:7], 0x0
	v_mul_lo_u32 v4, v8, s20
	v_mul_lo_u32 v11, v7, s21
	v_mad_u64_u32 v[9:10], null, v7, s20, 0
	s_add_u32 s18, s18, 1
	s_addc_u32 s19, s19, 0
	s_add_u32 s6, s6, 8
	s_addc_u32 s7, s7, 0
	;; [unrolled: 2-line block ×3, first 2 shown]
	v_add3_u32 v4, v10, v11, v4
	v_sub_co_u32 v5, vcc_lo, v5, v9
	v_sub_co_ci_u32_e32 v4, vcc_lo, v6, v4, vcc_lo
	s_waitcnt lgkmcnt(0)
	v_mul_lo_u32 v6, s1, v5
	v_mul_lo_u32 v4, s0, v4
	v_mad_u64_u32 v[1:2], null, s0, v5, v[1:2]
	v_cmp_ge_u64_e64 s0, s[18:19], s[10:11]
	s_and_b32 vcc_lo, exec_lo, s0
	v_add3_u32 v2, v6, v2, v4
	s_cbranch_vccnz .LBB0_9
; %bb.7:                                ;   in Loop: Header=BB0_2 Depth=1
	v_mov_b32_e32 v5, v7
	v_mov_b32_e32 v6, v8
	s_branch .LBB0_2
.LBB0_8:
	v_mov_b32_e32 v8, v6
	v_mov_b32_e32 v7, v5
.LBB0_9:
	s_lshl_b64 s[0:1], s[10:11], 3
	v_mul_hi_u32 v3, 0x1745d18, v0
	s_add_u32 s0, s14, s0
	s_addc_u32 s1, s15, s1
	s_load_dwordx2 s[4:5], s[4:5], 0x20
	s_load_dwordx2 s[0:1], s[0:1], 0x0
	v_mul_u32_u24_e32 v3, 0xb0, v3
	v_sub_nc_u32_e32 v87, v0, v3
	v_add_nc_u32_e32 v61, 0xb0, v87
	v_add_nc_u32_e32 v60, 0x160, v87
	;; [unrolled: 1-line block ×4, first 2 shown]
	s_waitcnt lgkmcnt(0)
	v_cmp_gt_u64_e32 vcc_lo, s[4:5], v[7:8]
	v_mul_lo_u32 v3, s0, v8
	v_mul_lo_u32 v4, s1, v7
	v_mad_u64_u32 v[0:1], null, s0, v7, v[1:2]
	v_cmp_le_u64_e64 s0, s[4:5], v[7:8]
                                        ; implicit-def: $sgpr4
	v_add3_u32 v1, v4, v1, v3
	s_and_saveexec_b32 s1, s0
	s_xor_b32 s0, exec_lo, s1
; %bb.10:
	v_add_nc_u32_e32 v61, 0xb0, v87
	v_add_nc_u32_e32 v60, 0x160, v87
	;; [unrolled: 1-line block ×4, first 2 shown]
	s_mov_b32 s4, 0
; %bb.11:
	s_or_saveexec_b32 s1, s0
	v_lshlrev_b64 v[84:85], 4, v[0:1]
	v_mov_b32_e32 v86, s4
                                        ; implicit-def: $vgpr10_vgpr11
                                        ; implicit-def: $vgpr6_vgpr7
                                        ; implicit-def: $vgpr38_vgpr39
                                        ; implicit-def: $vgpr18_vgpr19
                                        ; implicit-def: $vgpr30_vgpr31
                                        ; implicit-def: $vgpr42_vgpr43
                                        ; implicit-def: $vgpr46_vgpr47
                                        ; implicit-def: $vgpr22_vgpr23
                                        ; implicit-def: $vgpr34_vgpr35
                                        ; implicit-def: $vgpr26_vgpr27
                                        ; implicit-def: $vgpr14_vgpr15
                                        ; implicit-def: $vgpr2_vgpr3
	s_xor_b32 exec_lo, exec_lo, s1
	s_cbranch_execz .LBB0_15
; %bb.12:
	v_add_nc_u32_e32 v7, 0x3c8, v87
	v_mad_u64_u32 v[0:1], null, s2, v87, 0
	v_add_nc_u32_e32 v9, 0x478, v87
	v_add_co_u32 v42, s0, s12, v84
	v_mad_u64_u32 v[2:3], null, s2, v7, 0
	v_mad_u64_u32 v[12:13], null, s2, v9, 0
	v_add_co_ci_u32_e64 v43, s0, s13, v85, s0
	v_mad_u64_u32 v[16:17], null, s2, v60, 0
	v_mad_u64_u32 v[4:5], null, s3, v87, v[1:2]
	v_mov_b32_e32 v1, v3
	v_mad_u64_u32 v[5:6], null, s2, v61, 0
	v_add_nc_u32_e32 v27, 0x5d8, v87
	v_mad_u64_u32 v[20:21], null, s2, v48, 0
	v_mad_u64_u32 v[7:8], null, s3, v7, v[1:2]
	v_mov_b32_e32 v1, v4
	v_mov_b32_e32 v4, v6
	;; [unrolled: 1-line block ×3, first 2 shown]
	v_add_nc_u32_e32 v30, 0x688, v87
	v_mad_u64_u32 v[25:26], null, s2, v49, 0
	v_mov_b32_e32 v3, v7
	v_lshlrev_b64 v[0:1], 4, v[0:1]
	v_mad_u64_u32 v[7:8], null, s3, v61, v[4:5]
	s_mov_b32 s4, exec_lo
	v_lshlrev_b64 v[2:3], 4, v[2:3]
                                        ; implicit-def: $vgpr44_vgpr45
                                        ; implicit-def: $vgpr40_vgpr41
	v_add_co_u32 v0, s0, v42, v0
	v_add_co_ci_u32_e64 v1, s0, v43, v1, s0
	v_add_co_u32 v8, s0, v42, v2
	v_mad_u64_u32 v[13:14], null, s3, v9, v[6:7]
	v_add_co_ci_u32_e64 v9, s0, v43, v3, s0
	s_clause 0x1
	global_load_dwordx4 v[0:3], v[0:1], off
	global_load_dwordx4 v[8:11], v[8:9], off
	v_add_nc_u32_e32 v14, 0x528, v87
	v_mov_b32_e32 v6, v7
	v_lshlrev_b64 v[12:13], 4, v[12:13]
	v_mad_u64_u32 v[18:19], null, s2, v14, 0
	v_lshlrev_b64 v[4:5], 4, v[5:6]
	v_mov_b32_e32 v6, v17
	v_mad_u64_u32 v[6:7], null, s3, v60, v[6:7]
	v_mov_b32_e32 v7, v19
	v_add_co_u32 v4, s0, v42, v4
	v_add_co_ci_u32_e64 v5, s0, v43, v5, s0
	v_add_co_u32 v12, s0, v42, v12
	v_mov_b32_e32 v17, v6
	v_add_co_ci_u32_e64 v13, s0, v43, v13, s0
	v_lshlrev_b64 v[16:17], 4, v[16:17]
	v_add_co_u32 v16, s0, v42, v16
	v_add_co_ci_u32_e64 v17, s0, v43, v17, s0
	s_waitcnt vmcnt(0)
	v_mad_u64_u32 v[22:23], null, s3, v14, v[7:8]
	v_mad_u64_u32 v[23:24], null, s2, v27, 0
	s_clause 0x1
	global_load_dwordx4 v[4:7], v[4:5], off
	global_load_dwordx4 v[12:15], v[12:13], off
	v_mov_b32_e32 v19, v22
	v_mad_u64_u32 v[21:22], null, s3, v48, v[21:22]
	v_mov_b32_e32 v22, v24
	v_lshlrev_b64 v[18:19], 4, v[18:19]
	v_mad_u64_u32 v[27:28], null, s3, v27, v[22:23]
	v_mad_u64_u32 v[28:29], null, s2, v30, 0
	v_mov_b32_e32 v22, v26
	v_lshlrev_b64 v[20:21], 4, v[20:21]
	v_add_co_u32 v18, s0, v42, v18
	v_mov_b32_e32 v24, v27
	v_mad_u64_u32 v[26:27], null, s3, v49, v[22:23]
	v_mov_b32_e32 v22, v29
	v_add_co_ci_u32_e64 v19, s0, v43, v19, s0
	v_add_co_u32 v20, s0, v42, v20
	v_mad_u64_u32 v[29:30], null, s3, v30, v[22:23]
	v_lshlrev_b64 v[22:23], 4, v[23:24]
	v_lshlrev_b64 v[24:25], 4, v[25:26]
	v_add_co_ci_u32_e64 v21, s0, v43, v21, s0
	v_add_co_u32 v22, s0, v42, v22
	v_lshlrev_b64 v[26:27], 4, v[28:29]
	v_add_co_ci_u32_e64 v23, s0, v43, v23, s0
	v_add_co_u32 v28, s0, v42, v24
	v_add_co_ci_u32_e64 v29, s0, v43, v25, s0
	v_add_co_u32 v30, s0, v42, v26
	v_add_co_ci_u32_e64 v31, s0, v43, v27, s0
	s_clause 0x5
	global_load_dwordx4 v[24:27], v[16:17], off
	global_load_dwordx4 v[36:39], v[18:19], off
	;; [unrolled: 1-line block ×6, first 2 shown]
	v_cmpx_gt_u32_e32 0x58, v87
	s_cbranch_execz .LBB0_14
; %bb.13:
	v_add_nc_u32_e32 v46, 0x370, v87
	v_add_nc_u32_e32 v50, 0x738, v87
	v_mad_u64_u32 v[40:41], null, s2, v46, 0
	v_mad_u64_u32 v[44:45], null, s2, v50, 0
	;; [unrolled: 1-line block ×4, first 2 shown]
	v_mov_b32_e32 v41, v46
	v_lshlrev_b64 v[40:41], 4, v[40:41]
	v_mov_b32_e32 v45, v50
	v_add_co_u32 v40, s0, v42, v40
	v_lshlrev_b64 v[44:45], 4, v[44:45]
	v_add_co_ci_u32_e64 v41, s0, v43, v41, s0
	v_add_co_u32 v44, s0, v42, v44
	v_add_co_ci_u32_e64 v45, s0, v43, v45, s0
	s_clause 0x1
	global_load_dwordx4 v[40:43], v[40:41], off
	global_load_dwordx4 v[44:47], v[44:45], off
.LBB0_14:
	s_or_b32 exec_lo, exec_lo, s4
	v_mov_b32_e32 v86, v87
.LBB0_15:
	s_or_b32 exec_lo, exec_lo, s1
	v_add_f64 v[52:53], v[0:1], -v[8:9]
	v_add_f64 v[54:55], v[2:3], -v[10:11]
	s_waitcnt vmcnt(0)
	v_add_f64 v[8:9], v[40:41], -v[44:45]
	v_add_f64 v[10:11], v[42:43], -v[46:47]
	;; [unrolled: 1-line block ×10, first 2 shown]
	v_lshl_add_u32 v58, v87, 5, 0
	v_lshl_add_u32 v50, v61, 5, 0
	;; [unrolled: 1-line block ×5, first 2 shown]
	v_add_nc_u32_e32 v51, 0x370, v87
	v_cmp_gt_u32_e64 s0, 0x58, v87
	v_fma_f64 v[0:1], v[0:1], 2.0, -v[52:53]
	v_fma_f64 v[2:3], v[2:3], 2.0, -v[54:55]
	;; [unrolled: 1-line block ×12, first 2 shown]
	ds_write_b128 v58, v[52:55] offset:16
	ds_write_b128 v50, v[70:73] offset:16
	;; [unrolled: 1-line block ×4, first 2 shown]
	ds_write_b128 v58, v[0:3]
	ds_write_b128 v50, v[4:7]
	;; [unrolled: 1-line block ×5, first 2 shown]
	ds_write_b128 v69, v[28:31] offset:16
	s_and_saveexec_b32 s1, s0
	s_cbranch_execz .LBB0_17
; %bb.16:
	v_lshl_add_u32 v0, v51, 5, 0
	ds_write_b128 v0, v[12:15]
	ds_write_b128 v0, v[8:11] offset:16
.LBB0_17:
	s_or_b32 exec_lo, exec_lo, s1
	v_lshlrev_b32_e32 v52, 4, v87
	v_lshlrev_b32_e32 v54, 4, v61
	;; [unrolled: 1-line block ×5, first 2 shown]
	v_sub_nc_u32_e32 v36, v58, v52
	v_sub_nc_u32_e32 v16, v50, v54
	;; [unrolled: 1-line block ×5, first 2 shown]
	s_waitcnt lgkmcnt(0)
	s_barrier
	buffer_gl0_inv
	ds_read_b128 v[4:7], v36
	ds_read_b128 v[0:3], v36 offset:15488
	ds_read_b128 v[24:27], v16
	ds_read_b128 v[16:19], v17
	ds_read_b128 v[40:43], v36 offset:18304
	ds_read_b128 v[32:35], v36 offset:21120
	ds_read_b128 v[28:31], v20
	ds_read_b128 v[20:23], v21
	ds_read_b128 v[44:47], v36 offset:23936
	ds_read_b128 v[36:39], v36 offset:26752
	v_sub_nc_u32_e32 v59, 0, v52
	v_lshlrev_b32_e32 v57, 1, v87
	v_lshlrev_b32_e32 v56, 1, v61
	;; [unrolled: 1-line block ×5, first 2 shown]
	v_add_nc_u32_e32 v88, v58, v59
	s_and_saveexec_b32 s1, s0
	s_cbranch_execz .LBB0_19
; %bb.18:
	ds_read_b128 v[12:15], v88 offset:14080
	ds_read_b128 v[8:11], v88 offset:29568
.LBB0_19:
	s_or_b32 exec_lo, exec_lo, s1
	v_and_b32_e32 v49, 1, v87
	v_lshlrev_b32_e32 v58, 4, v49
	global_load_dwordx4 v[70:73], v58, s[8:9]
	s_waitcnt vmcnt(0) lgkmcnt(0)
	s_barrier
	buffer_gl0_inv
	v_mul_f64 v[58:59], v[2:3], v[72:73]
	v_mul_f64 v[65:66], v[0:1], v[72:73]
	;; [unrolled: 1-line block ×12, first 2 shown]
	v_fma_f64 v[0:1], v[0:1], v[70:71], v[58:59]
	v_fma_f64 v[2:3], v[2:3], v[70:71], -v[65:66]
	v_fma_f64 v[40:41], v[40:41], v[70:71], v[74:75]
	v_fma_f64 v[42:43], v[42:43], v[70:71], -v[76:77]
	;; [unrolled: 2-line block ×6, first 2 shown]
	v_add_f64 v[34:35], v[4:5], -v[0:1]
	v_add_f64 v[36:37], v[6:7], -v[2:3]
	;; [unrolled: 1-line block ×12, first 2 shown]
	v_sub_nc_u32_e32 v33, 0, v54
	v_sub_nc_u32_e32 v32, 0, v55
	v_and_or_b32 v46, 0x1fc, v57, v49
	v_and_or_b32 v47, 0x3fc, v56, v49
	v_fma_f64 v[54:55], v[4:5], 2.0, -v[34:35]
	v_fma_f64 v[56:57], v[6:7], 2.0, -v[36:37]
	;; [unrolled: 1-line block ×12, first 2 shown]
	v_and_or_b32 v20, 0x7fc, v53, v49
	v_and_or_b32 v21, 0x7fc, v52, v49
	;; [unrolled: 1-line block ×3, first 2 shown]
	v_lshl_add_u32 v23, v46, 4, 0
	v_lshl_add_u32 v46, v47, 4, 0
	;; [unrolled: 1-line block ×5, first 2 shown]
	ds_write_b128 v23, v[34:37] offset:32
	ds_write_b128 v23, v[54:57]
	ds_write_b128 v46, v[24:27]
	ds_write_b128 v46, v[38:41] offset:32
	ds_write_b128 v20, v[16:19]
	ds_write_b128 v20, v[42:45] offset:32
	;; [unrolled: 2-line block ×4, first 2 shown]
	s_and_saveexec_b32 s1, s0
	s_cbranch_execz .LBB0_21
; %bb.20:
	v_lshlrev_b32_e32 v16, 1, v51
	v_and_or_b32 v16, 0x7fc, v16, v49
	v_lshl_add_u32 v16, v16, 4, 0
	ds_write_b128 v16, v[12:15]
	ds_write_b128 v16, v[8:11] offset:32
.LBB0_21:
	s_or_b32 exec_lo, exec_lo, s1
	v_add_nc_u32_e32 v89, v50, v33
	s_waitcnt lgkmcnt(0)
	s_barrier
	buffer_gl0_inv
	ds_read_b128 v[20:23], v88
	ds_read_b128 v[16:19], v89
	ds_read_b128 v[48:51], v88 offset:7744
	ds_read_b128 v[36:39], v88 offset:10560
	;; [unrolled: 1-line block ×6, first 2 shown]
	v_cmp_gt_u32_e64 s0, 0x84, v87
	v_add_nc_u32_e32 v90, v64, v32
	s_and_saveexec_b32 s1, s0
	s_cbranch_execz .LBB0_23
; %bb.22:
	ds_read_b128 v[4:7], v90
	ds_read_b128 v[0:3], v88 offset:13376
	ds_read_b128 v[12:15], v88 offset:21120
	;; [unrolled: 1-line block ×3, first 2 shown]
.LBB0_23:
	s_or_b32 exec_lo, exec_lo, s1
	v_and_b32_e32 v64, 3, v87
	v_mul_u32_u24_e32 v24, 3, v64
	v_lshlrev_b32_e32 v24, 4, v24
	s_clause 0x2
	global_load_dwordx4 v[32:35], v24, s[8:9] offset:32
	global_load_dwordx4 v[28:31], v24, s[8:9] offset:48
	;; [unrolled: 1-line block ×3, first 2 shown]
	s_waitcnt vmcnt(0) lgkmcnt(0)
	s_barrier
	buffer_gl0_inv
	v_mul_f64 v[65:66], v[50:51], v[34:35]
	v_mul_f64 v[70:71], v[48:49], v[34:35]
	v_mul_f64 v[72:73], v[54:55], v[30:31]
	v_mul_f64 v[74:75], v[52:53], v[30:31]
	v_mul_f64 v[76:77], v[58:59], v[26:27]
	v_mul_f64 v[78:79], v[56:57], v[26:27]
	v_mul_f64 v[80:81], v[38:39], v[34:35]
	v_mul_f64 v[82:83], v[36:37], v[34:35]
	v_mul_f64 v[91:92], v[42:43], v[30:31]
	v_mul_f64 v[93:94], v[40:41], v[30:31]
	v_mul_f64 v[95:96], v[46:47], v[26:27]
	v_mul_f64 v[97:98], v[44:45], v[26:27]
	v_fma_f64 v[48:49], v[48:49], v[32:33], v[65:66]
	v_fma_f64 v[50:51], v[50:51], v[32:33], -v[70:71]
	v_fma_f64 v[52:53], v[52:53], v[28:29], v[72:73]
	v_fma_f64 v[54:55], v[54:55], v[28:29], -v[74:75]
	;; [unrolled: 2-line block ×6, first 2 shown]
	v_add_f64 v[52:53], v[20:21], -v[52:53]
	v_add_f64 v[54:55], v[22:23], -v[54:55]
	;; [unrolled: 1-line block ×8, first 2 shown]
	v_fma_f64 v[70:71], v[20:21], 2.0, -v[52:53]
	v_fma_f64 v[72:73], v[22:23], 2.0, -v[54:55]
	;; [unrolled: 1-line block ×8, first 2 shown]
	v_add_f64 v[16:17], v[52:53], v[58:59]
	v_add_f64 v[18:19], v[54:55], -v[56:57]
	v_add_f64 v[20:21], v[65:66], v[40:41]
	v_add_f64 v[36:37], v[70:71], -v[22:23]
	v_add_f64 v[38:39], v[72:73], -v[42:43]
	;; [unrolled: 1-line block ×3, first 2 shown]
	v_lshlrev_b32_e32 v44, 2, v87
	v_lshlrev_b32_e32 v45, 2, v61
	v_add_f64 v[40:41], v[76:77], -v[46:47]
	v_add_f64 v[42:43], v[78:79], -v[48:49]
	v_fma_f64 v[46:47], v[52:53], 2.0, -v[16:17]
	v_fma_f64 v[48:49], v[54:55], 2.0, -v[18:19]
	;; [unrolled: 1-line block ×3, first 2 shown]
	v_and_or_b32 v58, 0x3f0, v44, v64
	v_and_or_b32 v59, 0x7f0, v45, v64
	v_sub_nc_u32_e32 v44, 0, v62
	v_sub_nc_u32_e32 v45, 0, v63
	v_lshl_add_u32 v58, v58, 4, 0
	v_lshl_add_u32 v59, v59, 4, 0
	v_fma_f64 v[54:55], v[70:71], 2.0, -v[36:37]
	v_fma_f64 v[56:57], v[72:73], 2.0, -v[38:39]
	;; [unrolled: 1-line block ×5, first 2 shown]
	ds_write_b128 v58, v[16:19] offset:192
	ds_write_b128 v58, v[46:49] offset:64
	ds_write_b128 v58, v[36:39] offset:128
	ds_write_b128 v58, v[54:57]
	ds_write_b128 v59, v[70:73]
	ds_write_b128 v59, v[50:53] offset:64
	ds_write_b128 v59, v[40:43] offset:128
	;; [unrolled: 1-line block ×3, first 2 shown]
	s_and_saveexec_b32 s1, s0
	s_cbranch_execz .LBB0_25
; %bb.24:
	v_mul_f64 v[16:17], v[12:13], v[30:31]
	v_mul_f64 v[18:19], v[2:3], v[34:35]
	;; [unrolled: 1-line block ×6, first 2 shown]
	v_fma_f64 v[14:15], v[14:15], v[28:29], -v[16:17]
	v_fma_f64 v[0:1], v[0:1], v[32:33], v[18:19]
	v_fma_f64 v[2:3], v[2:3], v[32:33], -v[20:21]
	v_fma_f64 v[10:11], v[10:11], v[24:25], -v[22:23]
	v_fma_f64 v[12:13], v[12:13], v[28:29], v[30:31]
	v_fma_f64 v[8:9], v[8:9], v[24:25], v[26:27]
	v_add_f64 v[14:15], v[6:7], -v[14:15]
	v_add_f64 v[10:11], v[2:3], -v[10:11]
	;; [unrolled: 1-line block ×4, first 2 shown]
	v_fma_f64 v[16:17], v[6:7], 2.0, -v[14:15]
	v_fma_f64 v[6:7], v[2:3], 2.0, -v[10:11]
	;; [unrolled: 1-line block ×4, first 2 shown]
	v_add_f64 v[2:3], v[14:15], -v[8:9]
	v_add_f64 v[0:1], v[12:13], v[10:11]
	v_add_f64 v[6:7], v[16:17], -v[6:7]
	v_add_f64 v[4:5], v[18:19], -v[4:5]
	v_fma_f64 v[10:11], v[14:15], 2.0, -v[2:3]
	v_fma_f64 v[8:9], v[12:13], 2.0, -v[0:1]
	;; [unrolled: 1-line block ×3, first 2 shown]
	v_lshlrev_b32_e32 v16, 2, v60
	v_fma_f64 v[12:13], v[18:19], 2.0, -v[4:5]
	v_and_or_b32 v16, 0xff0, v16, v64
	v_lshl_add_u32 v16, v16, 4, 0
	ds_write_b128 v16, v[8:11] offset:64
	ds_write_b128 v16, v[4:7] offset:128
	ds_write_b128 v16, v[12:15]
	ds_write_b128 v16, v[0:3] offset:192
.LBB0_25:
	s_or_b32 exec_lo, exec_lo, s1
	v_and_b32_e32 v94, 15, v87
	s_waitcnt lgkmcnt(0)
	s_barrier
	buffer_gl0_inv
	v_add_nc_u32_e32 v92, v68, v44
	v_mul_u32_u24_e32 v0, 10, v94
	v_add_nc_u32_e32 v93, v69, v45
	v_lshl_add_u32 v91, v87, 4, 0
	s_mov_b32 s14, 0xf8bb580b
	s_mov_b32 s0, 0x8764f0ba
	v_lshlrev_b32_e32 v0, 4, v0
	s_mov_b32 s15, 0xbfe14ced
	s_mov_b32 s1, 0x3feaeb8c
	;; [unrolled: 1-line block ×4, first 2 shown]
	s_clause 0x9
	global_load_dwordx4 v[4:7], v0, s[8:9] offset:224
	global_load_dwordx4 v[16:19], v0, s[8:9] offset:368
	;; [unrolled: 1-line block ×10, first 2 shown]
	ds_read_b128 v[64:67], v89
	ds_read_b128 v[60:63], v88 offset:28160
	ds_read_b128 v[0:3], v88
	ds_read_b128 v[52:55], v90
	ds_read_b128 v[44:47], v88 offset:16896
	ds_read_b128 v[48:51], v88 offset:19712
	ds_read_b128 v[56:59], v88 offset:22528
	ds_read_b128 v[68:71], v88 offset:25344
	ds_read_b128 v[72:75], v92
	ds_read_b128 v[80:83], v91 offset:14080
	ds_read_b128 v[76:79], v93
	s_mov_b32 s19, 0xbfed1bb4
	s_mov_b32 s5, 0x3fda9628
	;; [unrolled: 1-line block ×14, first 2 shown]
	v_lshrrev_b32_e32 v115, 4, v87
	s_mov_b32 s21, 0x3fe14ced
	s_mov_b32 s27, 0x3fefac9e
	;; [unrolled: 1-line block ×8, first 2 shown]
	v_mul_u32_u24_e32 v245, 0xb0, v115
	s_mov_b32 s37, 0x3fe82f19
	s_mov_b32 s36, s28
	s_waitcnt vmcnt(0) lgkmcnt(0)
	s_barrier
	buffer_gl0_inv
	v_mul_f64 v[95:96], v[64:65], v[6:7]
	v_mul_f64 v[97:98], v[60:61], v[18:19]
	;; [unrolled: 1-line block ×20, first 2 shown]
	v_fma_f64 v[66:67], v[66:67], v[4:5], -v[95:96]
	v_fma_f64 v[62:63], v[62:63], v[16:17], -v[97:98]
	v_fma_f64 v[4:5], v[64:65], v[4:5], v[6:7]
	v_fma_f64 v[60:61], v[60:61], v[16:17], v[18:19]
	v_fma_f64 v[6:7], v[54:55], v[8:9], -v[99:100]
	v_fma_f64 v[54:55], v[70:71], v[32:33], -v[101:102]
	v_fma_f64 v[8:9], v[52:53], v[8:9], v[10:11]
	v_fma_f64 v[10:11], v[68:69], v[32:33], v[34:35]
	;; [unrolled: 1-line block ×3, first 2 shown]
	v_fma_f64 v[18:19], v[74:75], v[20:21], -v[22:23]
	v_fma_f64 v[20:21], v[58:59], v[40:41], -v[105:106]
	v_fma_f64 v[22:23], v[56:57], v[40:41], v[42:43]
	v_fma_f64 v[32:33], v[76:77], v[36:37], v[107:108]
	v_fma_f64 v[34:35], v[78:79], v[36:37], -v[38:39]
	v_fma_f64 v[36:37], v[50:51], v[28:29], -v[109:110]
	v_fma_f64 v[28:29], v[48:49], v[28:29], v[30:31]
	v_fma_f64 v[30:31], v[80:81], v[24:25], v[111:112]
	v_fma_f64 v[24:25], v[82:83], v[24:25], -v[26:27]
	v_fma_f64 v[26:27], v[46:47], v[12:13], -v[113:114]
	v_fma_f64 v[12:13], v[44:45], v[12:13], v[14:15]
	v_add_f64 v[46:47], v[2:3], v[66:67]
	v_add_f64 v[14:15], v[66:67], -v[62:63]
	v_add_f64 v[38:39], v[66:67], v[62:63]
	v_add_f64 v[42:43], v[4:5], v[60:61]
	v_add_f64 v[44:45], v[4:5], -v[60:61]
	v_add_f64 v[4:5], v[0:1], v[4:5]
	v_add_f64 v[40:41], v[6:7], -v[54:55]
	v_add_f64 v[50:51], v[6:7], v[54:55]
	v_add_f64 v[48:49], v[8:9], v[10:11]
	v_add_f64 v[52:53], v[8:9], -v[10:11]
	v_add_f64 v[56:57], v[18:19], -v[20:21]
	v_add_f64 v[64:65], v[18:19], v[20:21]
	v_add_f64 v[58:59], v[16:17], v[22:23]
	v_add_f64 v[66:67], v[16:17], -v[22:23]
	;; [unrolled: 4-line block ×4, first 2 shown]
	v_add_f64 v[6:7], v[46:47], v[6:7]
	v_mul_f64 v[95:96], v[14:15], s[14:15]
	v_mul_f64 v[97:98], v[38:39], s[0:1]
	;; [unrolled: 1-line block ×4, first 2 shown]
	v_add_f64 v[4:5], v[4:5], v[8:9]
	v_mul_f64 v[103:104], v[14:15], s[22:23]
	v_mul_f64 v[105:106], v[38:39], s[6:7]
	;; [unrolled: 1-line block ×16, first 2 shown]
	v_add_f64 v[6:7], v[6:7], v[18:19]
	v_fma_f64 v[171:172], v[42:43], s[0:1], v[95:96]
	v_fma_f64 v[173:174], v[44:45], s[20:21], v[97:98]
	v_mul_f64 v[123:124], v[56:57], s[22:23]
	v_mul_f64 v[125:126], v[56:57], s[34:35]
	v_add_f64 v[4:5], v[4:5], v[16:17]
	v_mul_f64 v[127:128], v[56:57], s[24:25]
	v_mul_f64 v[129:130], v[56:57], s[14:15]
	;; [unrolled: 1-line block ×16, first 2 shown]
	v_add_f64 v[6:7], v[6:7], v[34:35]
	v_mul_f64 v[153:154], v[72:73], s[16:17]
	v_mul_f64 v[72:73], v[72:73], s[4:5]
	v_mul_f64 v[155:156], v[76:77], s[30:31]
	v_mul_f64 v[157:158], v[76:77], s[20:21]
	v_add_f64 v[4:5], v[4:5], v[32:33]
	v_mul_f64 v[159:160], v[76:77], s[28:29]
	v_mul_f64 v[161:162], v[76:77], s[24:25]
	;; [unrolled: 1-line block ×8, first 2 shown]
	v_fma_f64 v[95:96], v[42:43], s[0:1], -v[95:96]
	v_fma_f64 v[97:98], v[44:45], s[14:15], v[97:98]
	v_fma_f64 v[175:176], v[42:43], s[4:5], v[99:100]
	;; [unrolled: 1-line block ×3, first 2 shown]
	v_fma_f64 v[99:100], v[42:43], s[4:5], -v[99:100]
	v_fma_f64 v[179:180], v[42:43], s[6:7], v[103:104]
	v_fma_f64 v[181:182], v[44:45], s[26:27], v[105:106]
	v_fma_f64 v[103:104], v[42:43], s[6:7], -v[103:104]
	v_fma_f64 v[183:184], v[42:43], s[10:11], v[107:108]
	v_fma_f64 v[185:186], v[44:45], s[36:37], v[109:110]
	;; [unrolled: 3-line block ×4, first 2 shown]
	v_fma_f64 v[105:106], v[44:45], s[22:23], v[105:106]
	v_fma_f64 v[101:102], v[44:45], s[18:19], v[101:102]
	v_add_f64 v[4:5], v[4:5], v[30:31]
	v_add_f64 v[6:7], v[6:7], v[24:25]
	v_fma_f64 v[42:43], v[48:49], s[4:5], v[111:112]
	v_fma_f64 v[44:45], v[48:49], s[4:5], -v[111:112]
	v_fma_f64 v[111:112], v[48:49], s[10:11], v[113:114]
	v_fma_f64 v[113:114], v[48:49], s[10:11], -v[113:114]
	;; [unrolled: 2-line block ×5, first 2 shown]
	v_fma_f64 v[48:49], v[52:53], s[24:25], v[8:9]
	v_add_f64 v[24:25], v[0:1], v[171:172]
	v_add_f64 v[30:31], v[2:3], v[173:174]
	v_fma_f64 v[8:9], v[52:53], s[18:19], v[8:9]
	v_fma_f64 v[197:198], v[52:53], s[36:37], v[46:47]
	v_fma_f64 v[46:47], v[52:53], s[28:29], v[46:47]
	v_fma_f64 v[199:200], v[52:53], s[30:31], v[119:120]
	v_fma_f64 v[119:120], v[52:53], s[34:35], v[119:120]
	v_fma_f64 v[201:202], v[52:53], s[22:23], v[121:122]
	v_fma_f64 v[121:122], v[52:53], s[26:27], v[121:122]
	v_fma_f64 v[203:204], v[52:53], s[14:15], v[50:51]
	v_fma_f64 v[50:51], v[52:53], s[20:21], v[50:51]
	v_fma_f64 v[52:53], v[58:59], s[6:7], v[123:124]
	v_fma_f64 v[123:124], v[58:59], s[6:7], -v[123:124]
	v_fma_f64 v[205:206], v[58:59], s[16:17], v[125:126]
	v_fma_f64 v[125:126], v[58:59], s[16:17], -v[125:126]
	v_fma_f64 v[207:208], v[58:59], s[4:5], v[127:128]
	v_fma_f64 v[127:128], v[58:59], s[4:5], -v[127:128]
	v_fma_f64 v[209:210], v[58:59], s[0:1], v[129:130]
	v_fma_f64 v[129:130], v[58:59], s[0:1], -v[129:130]
	v_fma_f64 v[211:212], v[58:59], s[10:11], v[56:57]
	v_fma_f64 v[56:57], v[58:59], s[10:11], -v[56:57]
	v_fma_f64 v[16:17], v[66:67], s[26:27], v[131:132]
	v_fma_f64 v[18:19], v[66:67], s[22:23], v[131:132]
	v_fma_f64 v[58:59], v[66:67], s[30:31], v[133:134]
	v_fma_f64 v[131:132], v[66:67], s[34:35], v[133:134]
	v_fma_f64 v[133:134], v[66:67], s[18:19], v[135:136]
	v_fma_f64 v[135:136], v[66:67], s[24:25], v[135:136]
	v_fma_f64 v[213:214], v[66:67], s[20:21], v[137:138]
	v_fma_f64 v[137:138], v[66:67], s[14:15], v[137:138]
	v_fma_f64 v[215:216], v[66:67], s[36:37], v[64:65]
	v_fma_f64 v[64:65], v[66:67], s[28:29], v[64:65]
	v_fma_f64 v[66:67], v[70:71], s[10:11], v[139:140]
	v_fma_f64 v[139:140], v[70:71], s[10:11], -v[139:140]
	v_fma_f64 v[217:218], v[70:71], s[6:7], v[141:142]
	v_fma_f64 v[141:142], v[70:71], s[6:7], -v[141:142]
	v_fma_f64 v[219:220], v[70:71], s[0:1], v[143:144]
	v_fma_f64 v[143:144], v[70:71], s[0:1], -v[143:144]
	v_fma_f64 v[221:222], v[70:71], s[16:17], v[145:146]
	v_fma_f64 v[145:146], v[70:71], s[16:17], -v[145:146]
	v_fma_f64 v[223:224], v[70:71], s[4:5], v[68:69]
	v_fma_f64 v[68:69], v[70:71], s[4:5], -v[68:69]
	v_fma_f64 v[70:71], v[74:75], s[36:37], v[147:148]
	;; [unrolled: 20-line block ×3, first 2 shown]
	v_fma_f64 v[163:164], v[82:83], s[30:31], v[163:164]
	v_fma_f64 v[237:238], v[82:83], s[14:15], v[165:166]
	;; [unrolled: 1-line block ×9, first 2 shown]
	v_add_f64 v[82:83], v[0:1], v[95:96]
	v_add_f64 v[95:96], v[2:3], v[97:98]
	;; [unrolled: 1-line block ×108, first 2 shown]
	v_or_b32_e32 v44, v245, v94
	v_lshl_add_u32 v44, v44, 4, 0
	ds_write_b128 v44, v[0:3] offset:256
	ds_write_b128 v44, v[8:11] offset:512
	;; [unrolled: 1-line block ×10, first 2 shown]
	ds_write_b128 v44, v[40:43]
	s_waitcnt lgkmcnt(0)
	s_barrier
	buffer_gl0_inv
	s_and_saveexec_b32 s33, vcc_lo
	s_cbranch_execz .LBB0_27
; %bb.26:
	v_mul_u32_u24_e32 v0, 10, v87
	v_add_nc_u32_e32 v111, 0xb0, v86
	v_add_nc_u32_e32 v112, 0x160, v86
	;; [unrolled: 1-line block ×4, first 2 shown]
	v_lshlrev_b32_e32 v0, 4, v0
	v_add_nc_u32_e32 v115, 0x370, v86
	v_add_nc_u32_e32 v116, 0x420, v86
	;; [unrolled: 1-line block ×4, first 2 shown]
	v_add_co_u32 v30, s8, s8, v0
	v_add_co_ci_u32_e64 v31, null, s9, 0, s8
	v_add_nc_u32_e32 v119, 0x630, v86
	v_add_co_u32 v0, vcc_lo, 0xb20, v30
	v_add_co_ci_u32_e32 v1, vcc_lo, 0, v31, vcc_lo
	v_add_co_u32 v2, vcc_lo, 0x800, v30
	v_add_co_ci_u32_e32 v3, vcc_lo, 0, v31, vcc_lo
	;; [unrolled: 2-line block ×3, first 2 shown]
	s_clause 0x5
	global_load_dwordx4 v[8:11], v[2:3], off offset:800
	global_load_dwordx4 v[12:15], v[0:1], off offset:16
	;; [unrolled: 1-line block ×6, first 2 shown]
	v_add_co_u32 v0, vcc_lo, 0xb60, v30
	v_add_co_ci_u32_e32 v1, vcc_lo, 0, v31, vcc_lo
	s_clause 0x3
	global_load_dwordx4 v[28:31], v[28:29], off offset:16
	global_load_dwordx4 v[36:39], v[2:3], off offset:864
	;; [unrolled: 1-line block ×4, first 2 shown]
	ds_read_b128 v[60:63], v88 offset:16896
	ds_read_b128 v[52:55], v88 offset:19712
	ds_read_b128 v[56:59], v93
	ds_read_b128 v[48:51], v92
	ds_read_b128 v[44:47], v88 offset:22528
	ds_read_b128 v[64:67], v88 offset:25344
	ds_read_b128 v[68:71], v90
	ds_read_b128 v[0:3], v88
	ds_read_b128 v[76:79], v91 offset:14080
	ds_read_b128 v[72:75], v89
	ds_read_b128 v[80:83], v88 offset:28160
	v_mad_u64_u32 v[87:88], null, s2, v86, 0
	v_mad_u64_u32 v[89:90], null, s2, v111, 0
	v_mad_u64_u32 v[91:92], null, s2, v112, 0
	v_mad_u64_u32 v[93:94], null, s2, v113, 0
	v_add_nc_u32_e32 v120, 0x6e0, v86
	v_mad_u64_u32 v[95:96], null, s2, v114, 0
	v_mad_u64_u32 v[97:98], null, s2, v115, 0
	;; [unrolled: 1-line block ×8, first 2 shown]
	v_mov_b32_e32 v86, v90
	v_mov_b32_e32 v88, v92
	;; [unrolled: 1-line block ×6, first 2 shown]
	v_mad_u64_u32 v[110:111], null, s3, v111, v[86:87]
	v_mov_b32_e32 v98, v102
	v_mad_u64_u32 v[111:112], null, s3, v112, v[88:89]
	v_mov_b32_e32 v100, v104
	;; [unrolled: 2-line block ×3, first 2 shown]
	v_mov_b32_e32 v104, v108
	v_mad_u64_u32 v[113:114], null, s3, v114, v[92:93]
	v_mad_u64_u32 v[114:115], null, s3, v115, v[94:95]
	;; [unrolled: 1-line block ×5, first 2 shown]
	v_mov_b32_e32 v88, v109
	v_mad_u64_u32 v[108:109], null, s3, v119, v[102:103]
	v_mad_u64_u32 v[118:119], null, s3, v120, v[104:105]
	v_mov_b32_e32 v90, v110
	v_mov_b32_e32 v92, v111
	;; [unrolled: 1-line block ×10, first 2 shown]
	v_lshlrev_b64 v[86:87], 4, v[87:88]
	v_add_co_u32 v84, vcc_lo, s12, v84
	v_add_co_ci_u32_e32 v85, vcc_lo, s13, v85, vcc_lo
	v_lshlrev_b64 v[88:89], 4, v[89:90]
	v_lshlrev_b64 v[90:91], 4, v[91:92]
	v_add_co_u32 v86, vcc_lo, v84, v86
	v_add_co_ci_u32_e32 v87, vcc_lo, v85, v87, vcc_lo
	v_lshlrev_b64 v[92:93], 4, v[93:94]
	v_add_co_u32 v88, vcc_lo, v84, v88
	v_add_co_ci_u32_e32 v89, vcc_lo, v85, v89, vcc_lo
	v_lshlrev_b64 v[94:95], 4, v[95:96]
	v_add_co_u32 v90, vcc_lo, v84, v90
	v_add_co_ci_u32_e32 v91, vcc_lo, v85, v91, vcc_lo
	v_lshlrev_b64 v[96:97], 4, v[97:98]
	v_add_co_u32 v92, vcc_lo, v84, v92
	v_add_co_ci_u32_e32 v93, vcc_lo, v85, v93, vcc_lo
	v_lshlrev_b64 v[98:99], 4, v[99:100]
	v_add_co_u32 v94, vcc_lo, v84, v94
	v_add_co_ci_u32_e32 v95, vcc_lo, v85, v95, vcc_lo
	v_lshlrev_b64 v[100:101], 4, v[101:102]
	s_waitcnt vmcnt(9) lgkmcnt(2)
	v_mul_f64 v[109:110], v[10:11], v[78:79]
	s_waitcnt vmcnt(8)
	v_mul_f64 v[111:112], v[14:15], v[62:63]
	v_mul_f64 v[10:11], v[76:77], v[10:11]
	;; [unrolled: 1-line block ×3, first 2 shown]
	s_waitcnt vmcnt(7)
	v_mul_f64 v[113:114], v[22:23], v[58:59]
	s_waitcnt vmcnt(6)
	v_mul_f64 v[115:116], v[18:19], v[54:55]
	v_mul_f64 v[22:23], v[56:57], v[22:23]
	v_mul_f64 v[18:19], v[52:53], v[18:19]
	s_waitcnt vmcnt(4)
	v_mul_f64 v[117:118], v[26:27], v[50:51]
	v_mul_f64 v[119:120], v[6:7], v[46:47]
	;; [unrolled: 1-line block ×4, first 2 shown]
	s_waitcnt vmcnt(3)
	v_mul_f64 v[121:122], v[30:31], v[70:71]
	v_mul_f64 v[30:31], v[68:69], v[30:31]
	s_waitcnt vmcnt(1) lgkmcnt(1)
	v_mul_f64 v[125:126], v[34:35], v[74:75]
	s_waitcnt vmcnt(0) lgkmcnt(0)
	v_mul_f64 v[127:128], v[42:43], v[82:83]
	v_mul_f64 v[34:35], v[72:73], v[34:35]
	;; [unrolled: 1-line block ×5, first 2 shown]
	v_fma_f64 v[76:77], v[8:9], v[76:77], v[109:110]
	v_fma_f64 v[60:61], v[12:13], v[60:61], v[111:112]
	v_fma_f64 v[8:9], v[8:9], v[78:79], -v[10:11]
	v_fma_f64 v[10:11], v[12:13], v[62:63], -v[14:15]
	v_fma_f64 v[12:13], v[20:21], v[56:57], v[113:114]
	v_fma_f64 v[14:15], v[16:17], v[52:53], v[115:116]
	v_fma_f64 v[20:21], v[20:21], v[58:59], -v[22:23]
	v_fma_f64 v[16:17], v[16:17], v[54:55], -v[18:19]
	;; [unrolled: 4-line block ×3, first 2 shown]
	v_add_co_u32 v46, vcc_lo, v84, v96
	v_fma_f64 v[48:49], v[32:33], v[72:73], v[125:126]
	v_fma_f64 v[50:51], v[40:41], v[80:81], v[127:128]
	v_fma_f64 v[6:7], v[28:29], v[70:71], -v[30:31]
	v_fma_f64 v[30:31], v[32:33], v[74:75], -v[34:35]
	;; [unrolled: 1-line block ×3, first 2 shown]
	v_add_co_ci_u32_e32 v47, vcc_lo, v85, v97, vcc_lo
	v_add_co_u32 v52, vcc_lo, v84, v98
	v_add_co_ci_u32_e32 v53, vcc_lo, v85, v99, vcc_lo
	v_add_co_u32 v54, vcc_lo, v84, v100
	v_fma_f64 v[26:27], v[28:29], v[68:69], v[121:122]
	v_fma_f64 v[44:45], v[36:37], v[64:65], v[123:124]
	v_fma_f64 v[28:29], v[36:37], v[66:67], -v[38:39]
	v_add_co_ci_u32_e32 v55, vcc_lo, v85, v101, vcc_lo
	v_add_f64 v[34:35], v[76:77], -v[60:61]
	v_add_f64 v[38:39], v[18:19], -v[22:23]
	;; [unrolled: 1-line block ×4, first 2 shown]
	v_add_f64 v[96:97], v[18:19], v[22:23]
	v_add_f64 v[42:43], v[48:49], -v[50:51]
	v_add_f64 v[100:101], v[48:49], v[50:51]
	v_add_f64 v[48:49], v[48:49], v[0:1]
	v_add_f64 v[66:67], v[30:31], -v[32:33]
	v_add_f64 v[78:79], v[30:31], v[32:33]
	v_add_f64 v[30:31], v[2:3], v[30:31]
	v_add_f64 v[36:37], v[12:13], -v[14:15]
	v_add_f64 v[62:63], v[24:25], -v[4:5]
	v_add_f64 v[68:69], v[8:9], v[10:11]
	v_add_f64 v[72:73], v[24:25], v[4:5]
	;; [unrolled: 1-line block ×5, first 2 shown]
	v_add_f64 v[40:41], v[26:27], -v[44:45]
	v_add_f64 v[64:65], v[6:7], -v[28:29]
	v_add_f64 v[74:75], v[6:7], v[28:29]
	v_add_f64 v[98:99], v[26:27], v[44:45]
	v_mul_f64 v[109:110], v[34:35], s[22:23]
	v_mul_f64 v[113:114], v[38:39], s[28:29]
	;; [unrolled: 1-line block ×7, first 2 shown]
	v_add_f64 v[26:27], v[26:27], v[48:49]
	v_mul_f64 v[153:154], v[38:39], s[24:25]
	v_mul_f64 v[157:158], v[42:43], s[22:23]
	v_add_f64 v[6:7], v[6:7], v[30:31]
	v_mul_f64 v[159:160], v[56:57], s[28:29]
	v_mul_f64 v[161:162], v[58:59], s[14:15]
	;; [unrolled: 1-line block ×18, first 2 shown]
	v_add_f64 v[18:19], v[18:19], v[26:27]
	v_mul_f64 v[155:156], v[40:41], s[34:35]
	v_mul_f64 v[171:172], v[36:37], s[26:27]
	v_add_f64 v[6:7], v[24:25], v[6:7]
	v_mul_f64 v[175:176], v[40:41], s[28:29]
	v_mul_f64 v[179:180], v[56:57], s[20:21]
	v_mul_f64 v[187:188], v[66:67], s[18:19]
	v_mul_f64 v[36:37], v[36:37], s[28:29]
	v_mul_f64 v[40:41], v[40:41], s[18:19]
	v_mul_f64 v[56:57], v[56:57], s[30:31]
	v_mul_f64 v[66:67], v[66:67], s[14:15]
	v_mul_f64 v[121:122], v[58:59], s[24:25]
	v_mul_f64 v[123:124], v[62:63], s[28:29]
	v_mul_f64 v[125:126], v[64:65], s[20:21]
	v_mul_f64 v[141:142], v[58:59], s[30:31]
	v_mul_f64 v[143:144], v[62:63], s[14:15]
	v_mul_f64 v[145:146], v[64:65], s[26:27]
	v_mul_f64 v[163:164], v[62:63], s[24:25]
	v_mul_f64 v[165:166], v[64:65], s[34:35]
	v_mul_f64 v[181:182], v[58:59], s[26:27]
	v_mul_f64 v[183:184], v[62:63], s[34:35]
	v_mul_f64 v[185:186], v[64:65], s[28:29]
	v_add_f64 v[12:13], v[12:13], v[18:19]
	v_mul_f64 v[58:59], v[58:59], s[28:29]
	v_mul_f64 v[62:63], v[62:63], s[22:23]
	v_add_f64 v[6:7], v[20:21], v[6:7]
	v_mul_f64 v[64:65], v[64:65], s[18:19]
	v_fma_f64 v[30:31], v[68:69], s[6:7], v[109:110]
	v_fma_f64 v[189:190], v[72:73], s[10:11], v[113:114]
	;; [unrolled: 1-line block ×3, first 2 shown]
	v_fma_f64 v[109:110], v[68:69], s[6:7], -v[109:110]
	v_fma_f64 v[113:114], v[72:73], s[10:11], -v[113:114]
	v_fma_f64 v[205:206], v[68:69], s[4:5], v[129:130]
	v_fma_f64 v[209:210], v[72:73], s[0:1], v[133:134]
	v_fma_f64 v[129:130], v[68:69], s[4:5], -v[129:130]
	v_fma_f64 v[133:134], v[72:73], s[0:1], -v[133:134]
	v_fma_f64 v[225:226], v[68:69], s[10:11], v[149:150]
	v_fma_f64 v[229:230], v[72:73], s[4:5], v[153:154]
	;; [unrolled: 1-line block ×3, first 2 shown]
	v_fma_f64 v[233:234], v[80:81], s[10:11], -v[159:160]
	v_fma_f64 v[235:236], v[82:83], s[0:1], -v[161:162]
	;; [unrolled: 1-line block ×6, first 2 shown]
	v_fma_f64 v[157:158], v[80:81], s[10:11], v[159:160]
	v_fma_f64 v[159:160], v[82:83], s[0:1], v[161:162]
	;; [unrolled: 1-line block ×5, first 2 shown]
	v_fma_f64 v[169:170], v[68:69], s[0:1], -v[169:170]
	v_fma_f64 v[173:174], v[72:73], s[16:17], -v[173:174]
	v_fma_f64 v[253:254], v[68:69], s[16:17], v[34:35]
	v_fma_f64 v[34:35], v[68:69], s[16:17], -v[34:35]
	v_fma_f64 v[68:69], v[72:73], s[6:7], v[38:39]
	;; [unrolled: 2-line block ×3, first 2 shown]
	v_fma_f64 v[42:43], v[78:79], s[0:1], -v[42:43]
	v_add_f64 v[6:7], v[8:9], v[6:7]
	v_add_f64 v[12:13], v[76:77], v[12:13]
	v_fma_f64 v[48:49], v[70:71], s[4:5], v[111:112]
	v_fma_f64 v[191:192], v[74:75], s[0:1], v[115:116]
	v_fma_f64 v[195:196], v[80:81], s[6:7], -v[119:120]
	v_fma_f64 v[111:112], v[70:71], s[4:5], -v[111:112]
	;; [unrolled: 1-line block ×3, first 2 shown]
	v_fma_f64 v[119:120], v[80:81], s[6:7], v[119:120]
	v_fma_f64 v[207:208], v[70:71], s[16:17], v[131:132]
	;; [unrolled: 1-line block ×3, first 2 shown]
	v_fma_f64 v[215:216], v[80:81], s[4:5], -v[139:140]
	v_fma_f64 v[131:132], v[70:71], s[16:17], -v[131:132]
	;; [unrolled: 1-line block ×3, first 2 shown]
	v_fma_f64 v[139:140], v[80:81], s[4:5], v[139:140]
	v_fma_f64 v[227:228], v[70:71], s[0:1], v[151:152]
	;; [unrolled: 1-line block ×3, first 2 shown]
	v_fma_f64 v[151:152], v[70:71], s[0:1], -v[151:152]
	v_fma_f64 v[155:156], v[74:75], s[16:17], -v[155:156]
	v_fma_f64 v[241:242], v[70:71], s[6:7], v[171:172]
	v_fma_f64 v[245:246], v[74:75], s[10:11], v[175:176]
	v_fma_f64 v[249:250], v[80:81], s[0:1], -v[179:180]
	v_fma_f64 v[171:172], v[70:71], s[6:7], -v[171:172]
	;; [unrolled: 1-line block ×3, first 2 shown]
	v_fma_f64 v[179:180], v[80:81], s[0:1], v[179:180]
	v_fma_f64 v[18:19], v[70:71], s[10:11], v[36:37]
	v_fma_f64 v[36:37], v[70:71], s[10:11], -v[36:37]
	v_fma_f64 v[70:71], v[74:75], s[4:5], v[40:41]
	v_fma_f64 v[40:41], v[74:75], s[4:5], -v[40:41]
	v_fma_f64 v[74:75], v[80:81], s[16:17], -v[56:57]
	v_fma_f64 v[56:57], v[80:81], s[16:17], v[56:57]
	v_fma_f64 v[80:81], v[100:101], s[0:1], -v[66:67]
	v_fma_f64 v[66:67], v[100:101], s[0:1], v[66:67]
	v_fma_f64 v[203:204], v[100:101], s[16:17], -v[127:128]
	v_fma_f64 v[117:118], v[78:79], s[16:17], -v[117:118]
	v_fma_f64 v[127:128], v[100:101], s[16:17], v[127:128]
	v_fma_f64 v[213:214], v[78:79], s[10:11], v[137:138]
	v_fma_f64 v[137:138], v[78:79], s[10:11], -v[137:138]
	v_fma_f64 v[247:248], v[78:79], s[4:5], v[177:178]
	v_fma_f64 v[20:21], v[100:101], s[4:5], -v[187:188]
	v_fma_f64 v[177:178], v[78:79], s[4:5], -v[177:178]
	v_fma_f64 v[187:188], v[100:101], s[4:5], v[187:188]
	v_fma_f64 v[223:224], v[100:101], s[10:11], -v[147:148]
	v_fma_f64 v[147:148], v[100:101], s[10:11], v[147:148]
	v_fma_f64 v[197:198], v[82:83], s[4:5], -v[121:122]
	v_fma_f64 v[199:200], v[96:97], s[10:11], -v[123:124]
	;; [unrolled: 1-line block ×3, first 2 shown]
	v_fma_f64 v[121:122], v[82:83], s[4:5], v[121:122]
	v_fma_f64 v[123:124], v[96:97], s[10:11], v[123:124]
	;; [unrolled: 1-line block ×3, first 2 shown]
	v_fma_f64 v[217:218], v[82:83], s[16:17], -v[141:142]
	v_fma_f64 v[219:220], v[96:97], s[0:1], -v[143:144]
	v_fma_f64 v[221:222], v[98:99], s[6:7], -v[145:146]
	v_fma_f64 v[141:142], v[82:83], s[16:17], v[141:142]
	v_fma_f64 v[143:144], v[96:97], s[0:1], v[143:144]
	;; [unrolled: 1-line block ×3, first 2 shown]
	v_fma_f64 v[237:238], v[96:97], s[4:5], -v[163:164]
	v_fma_f64 v[251:252], v[82:83], s[6:7], -v[181:182]
	v_fma_f64 v[181:182], v[82:83], s[6:7], v[181:182]
	v_fma_f64 v[78:79], v[82:83], s[10:11], -v[58:59]
	v_fma_f64 v[58:59], v[82:83], s[10:11], v[58:59]
	;; [unrolled: 2-line block ×3, first 2 shown]
	v_fma_f64 v[163:164], v[98:99], s[16:17], v[165:166]
	v_fma_f64 v[8:9], v[96:97], s[16:17], -v[183:184]
	v_fma_f64 v[165:166], v[96:97], s[16:17], v[183:184]
	v_fma_f64 v[76:77], v[96:97], s[6:7], -v[62:63]
	;; [unrolled: 2-line block ×4, first 2 shown]
	v_fma_f64 v[64:65], v[98:99], s[4:5], v[64:65]
	v_lshlrev_b64 v[98:99], 4, v[103:104]
	v_lshlrev_b64 v[102:103], 4, v[105:106]
	;; [unrolled: 1-line block ×3, first 2 shown]
	v_add_f64 v[106:107], v[2:3], v[193:194]
	v_add_f64 v[42:43], v[2:3], v[42:43]
	;; [unrolled: 1-line block ×110, first 2 shown]
	v_add_co_u32 v44, vcc_lo, v84, v98
	v_add_co_ci_u32_e32 v45, vcc_lo, v85, v99, vcc_lo
	v_add_co_u32 v48, vcc_lo, v84, v102
	v_add_co_ci_u32_e32 v49, vcc_lo, v85, v103, vcc_lo
	;; [unrolled: 2-line block ×3, first 2 shown]
	global_store_dwordx4 v[86:87], v[28:31], off
	global_store_dwordx4 v[88:89], v[24:27], off
	;; [unrolled: 1-line block ×11, first 2 shown]
.LBB0_27:
	s_endpgm
	.section	.rodata,"a",@progbits
	.p2align	6, 0x0
	.amdhsa_kernel fft_rtc_back_len1936_factors_2_2_4_11_11_wgs_176_tpt_176_dp_ip_CI_sbrr_dirReg
		.amdhsa_group_segment_fixed_size 0
		.amdhsa_private_segment_fixed_size 0
		.amdhsa_kernarg_size 88
		.amdhsa_user_sgpr_count 6
		.amdhsa_user_sgpr_private_segment_buffer 1
		.amdhsa_user_sgpr_dispatch_ptr 0
		.amdhsa_user_sgpr_queue_ptr 0
		.amdhsa_user_sgpr_kernarg_segment_ptr 1
		.amdhsa_user_sgpr_dispatch_id 0
		.amdhsa_user_sgpr_flat_scratch_init 0
		.amdhsa_user_sgpr_private_segment_size 0
		.amdhsa_wavefront_size32 1
		.amdhsa_uses_dynamic_stack 0
		.amdhsa_system_sgpr_private_segment_wavefront_offset 0
		.amdhsa_system_sgpr_workgroup_id_x 1
		.amdhsa_system_sgpr_workgroup_id_y 0
		.amdhsa_system_sgpr_workgroup_id_z 0
		.amdhsa_system_sgpr_workgroup_info 0
		.amdhsa_system_vgpr_workitem_id 0
		.amdhsa_next_free_vgpr 255
		.amdhsa_next_free_sgpr 38
		.amdhsa_reserve_vcc 1
		.amdhsa_reserve_flat_scratch 0
		.amdhsa_float_round_mode_32 0
		.amdhsa_float_round_mode_16_64 0
		.amdhsa_float_denorm_mode_32 3
		.amdhsa_float_denorm_mode_16_64 3
		.amdhsa_dx10_clamp 1
		.amdhsa_ieee_mode 1
		.amdhsa_fp16_overflow 0
		.amdhsa_workgroup_processor_mode 1
		.amdhsa_memory_ordered 1
		.amdhsa_forward_progress 0
		.amdhsa_shared_vgpr_count 0
		.amdhsa_exception_fp_ieee_invalid_op 0
		.amdhsa_exception_fp_denorm_src 0
		.amdhsa_exception_fp_ieee_div_zero 0
		.amdhsa_exception_fp_ieee_overflow 0
		.amdhsa_exception_fp_ieee_underflow 0
		.amdhsa_exception_fp_ieee_inexact 0
		.amdhsa_exception_int_div_zero 0
	.end_amdhsa_kernel
	.text
.Lfunc_end0:
	.size	fft_rtc_back_len1936_factors_2_2_4_11_11_wgs_176_tpt_176_dp_ip_CI_sbrr_dirReg, .Lfunc_end0-fft_rtc_back_len1936_factors_2_2_4_11_11_wgs_176_tpt_176_dp_ip_CI_sbrr_dirReg
                                        ; -- End function
	.section	.AMDGPU.csdata,"",@progbits
; Kernel info:
; codeLenInByte = 11116
; NumSgprs: 40
; NumVgprs: 255
; ScratchSize: 0
; MemoryBound: 1
; FloatMode: 240
; IeeeMode: 1
; LDSByteSize: 0 bytes/workgroup (compile time only)
; SGPRBlocks: 4
; VGPRBlocks: 31
; NumSGPRsForWavesPerEU: 40
; NumVGPRsForWavesPerEU: 255
; Occupancy: 4
; WaveLimiterHint : 1
; COMPUTE_PGM_RSRC2:SCRATCH_EN: 0
; COMPUTE_PGM_RSRC2:USER_SGPR: 6
; COMPUTE_PGM_RSRC2:TRAP_HANDLER: 0
; COMPUTE_PGM_RSRC2:TGID_X_EN: 1
; COMPUTE_PGM_RSRC2:TGID_Y_EN: 0
; COMPUTE_PGM_RSRC2:TGID_Z_EN: 0
; COMPUTE_PGM_RSRC2:TIDIG_COMP_CNT: 0
	.text
	.p2alignl 6, 3214868480
	.fill 48, 4, 3214868480
	.type	__hip_cuid_358fe0e6a1f88c3b,@object ; @__hip_cuid_358fe0e6a1f88c3b
	.section	.bss,"aw",@nobits
	.globl	__hip_cuid_358fe0e6a1f88c3b
__hip_cuid_358fe0e6a1f88c3b:
	.byte	0                               ; 0x0
	.size	__hip_cuid_358fe0e6a1f88c3b, 1

	.ident	"AMD clang version 19.0.0git (https://github.com/RadeonOpenCompute/llvm-project roc-6.4.0 25133 c7fe45cf4b819c5991fe208aaa96edf142730f1d)"
	.section	".note.GNU-stack","",@progbits
	.addrsig
	.addrsig_sym __hip_cuid_358fe0e6a1f88c3b
	.amdgpu_metadata
---
amdhsa.kernels:
  - .args:
      - .actual_access:  read_only
        .address_space:  global
        .offset:         0
        .size:           8
        .value_kind:     global_buffer
      - .offset:         8
        .size:           8
        .value_kind:     by_value
      - .actual_access:  read_only
        .address_space:  global
        .offset:         16
        .size:           8
        .value_kind:     global_buffer
      - .actual_access:  read_only
        .address_space:  global
        .offset:         24
        .size:           8
        .value_kind:     global_buffer
      - .offset:         32
        .size:           8
        .value_kind:     by_value
      - .actual_access:  read_only
        .address_space:  global
        .offset:         40
        .size:           8
        .value_kind:     global_buffer
      - .actual_access:  read_only
        .address_space:  global
        .offset:         48
        .size:           8
        .value_kind:     global_buffer
      - .offset:         56
        .size:           4
        .value_kind:     by_value
      - .actual_access:  read_only
        .address_space:  global
        .offset:         64
        .size:           8
        .value_kind:     global_buffer
      - .actual_access:  read_only
        .address_space:  global
        .offset:         72
        .size:           8
        .value_kind:     global_buffer
      - .address_space:  global
        .offset:         80
        .size:           8
        .value_kind:     global_buffer
    .group_segment_fixed_size: 0
    .kernarg_segment_align: 8
    .kernarg_segment_size: 88
    .language:       OpenCL C
    .language_version:
      - 2
      - 0
    .max_flat_workgroup_size: 176
    .name:           fft_rtc_back_len1936_factors_2_2_4_11_11_wgs_176_tpt_176_dp_ip_CI_sbrr_dirReg
    .private_segment_fixed_size: 0
    .sgpr_count:     40
    .sgpr_spill_count: 0
    .symbol:         fft_rtc_back_len1936_factors_2_2_4_11_11_wgs_176_tpt_176_dp_ip_CI_sbrr_dirReg.kd
    .uniform_work_group_size: 1
    .uses_dynamic_stack: false
    .vgpr_count:     255
    .vgpr_spill_count: 0
    .wavefront_size: 32
    .workgroup_processor_mode: 1
amdhsa.target:   amdgcn-amd-amdhsa--gfx1030
amdhsa.version:
  - 1
  - 2
...

	.end_amdgpu_metadata
